;; amdgpu-corpus repo=ROCm/rocFFT kind=compiled arch=gfx1201 opt=O3
	.text
	.amdgcn_target "amdgcn-amd-amdhsa--gfx1201"
	.amdhsa_code_object_version 6
	.protected	bluestein_single_back_len2500_dim1_dp_op_CI_CI ; -- Begin function bluestein_single_back_len2500_dim1_dp_op_CI_CI
	.globl	bluestein_single_back_len2500_dim1_dp_op_CI_CI
	.p2align	8
	.type	bluestein_single_back_len2500_dim1_dp_op_CI_CI,@function
bluestein_single_back_len2500_dim1_dp_op_CI_CI: ; @bluestein_single_back_len2500_dim1_dp_op_CI_CI
; %bb.0:
	s_load_b128 s[12:15], s[0:1], 0x28
	v_mul_u32_u24_e32 v1, 0x107, v0
	s_mov_b32 s2, exec_lo
	v_mov_b32_e32 v141, 0
	s_delay_alu instid0(VALU_DEP_2) | instskip(NEXT) | instid1(VALU_DEP_1)
	v_lshrrev_b32_e32 v1, 16, v1
	v_add_nc_u32_e32 v140, ttmp9, v1
	s_wait_kmcnt 0x0
	s_delay_alu instid0(VALU_DEP_1)
	v_cmpx_gt_u64_e64 s[12:13], v[140:141]
	s_cbranch_execz .LBB0_2
; %bb.1:
	s_clause 0x1
	s_load_b128 s[4:7], s[0:1], 0x18
	s_load_b128 s[8:11], s[0:1], 0x0
	v_mul_lo_u16 v1, 0xfa, v1
	s_mov_b32 s13, 0xbfe2cf23
	s_mov_b32 s20, 0x9b97f4a8
	;; [unrolled: 1-line block ×4, first 2 shown]
	v_sub_nc_u16 v72, v0, v1
	s_mov_b32 s25, 0xbfe9e377
	s_mov_b32 s24, s20
	s_load_b64 s[0:1], s[0:1], 0x38
	s_wait_kmcnt 0x0
	s_load_b128 s[16:19], s[4:5], 0x0
	s_wait_kmcnt 0x0
	v_mad_co_u64_u32 v[12:13], null, s18, v140, 0
	v_and_b32_e32 v141, 0xffff, v72
	s_mul_u64 s[2:3], s[16:17], 0xfa0
	s_delay_alu instid0(VALU_DEP_2) | instskip(NEXT) | instid1(VALU_DEP_2)
	v_mov_b32_e32 v0, v13
	v_mad_co_u64_u32 v[24:25], null, s16, v141, 0
	s_delay_alu instid0(VALU_DEP_1) | instskip(NEXT) | instid1(VALU_DEP_1)
	v_dual_mov_b32 v1, v25 :: v_dual_lshlrev_b32 v142, 4, v141
	v_mad_co_u64_u32 v[2:3], null, s19, v140, v[0:1]
	s_mov_b32 s18, 0x372fe950
	s_mov_b32 s19, 0x3fd3c6ef
	s_wait_alu 0xfffe
	s_mov_b32 s22, s18
	s_delay_alu instid0(VALU_DEP_1)
	v_mad_co_u64_u32 v[14:15], null, s17, v141, v[1:2]
	v_mov_b32_e32 v13, v2
	s_clause 0x2
	global_load_b128 v[0:3], v142, s[8:9]
	global_load_b128 v[4:7], v142, s[8:9] offset:4000
	global_load_b128 v[8:11], v142, s[8:9] offset:8000
	s_mov_b32 s17, 0xbfee6f0e
	v_lshlrev_b64_e32 v[26:27], 4, v[12:13]
	v_mov_b32_e32 v25, v14
	s_clause 0x2
	global_load_b128 v[12:15], v142, s[8:9] offset:12000
	global_load_b128 v[16:19], v142, s[8:9] offset:16000
	;; [unrolled: 1-line block ×3, first 2 shown]
	v_add_co_u32 v30, vcc_lo, s14, v26
	v_lshlrev_b64_e32 v[28:29], 4, v[24:25]
	v_add_co_ci_u32_e32 v31, vcc_lo, s15, v27, vcc_lo
	global_load_b128 v[24:27], v142, s[8:9] offset:24000
	s_mov_b32 s14, 0x134454ff
	s_mov_b32 s15, 0x3fee6f0e
	v_add_co_u32 v32, vcc_lo, v30, v28
	s_wait_alu 0xfffd
	v_add_co_ci_u32_e32 v33, vcc_lo, v31, v29, vcc_lo
	global_load_b128 v[28:31], v142, s[8:9] offset:28000
	v_add_co_u32 v34, vcc_lo, v32, s2
	s_wait_alu 0xfffd
	v_add_co_ci_u32_e32 v35, vcc_lo, s3, v33, vcc_lo
	global_load_b128 v[40:43], v[32:33], off
	v_add_co_u32 v36, vcc_lo, v34, s2
	global_load_b128 v[44:47], v[34:35], off
	s_wait_alu 0xfffd
	v_add_co_ci_u32_e32 v37, vcc_lo, s3, v35, vcc_lo
	v_add_co_u32 v32, vcc_lo, v36, s2
	s_wait_alu 0xfffe
	s_mov_b32 s16, s14
	s_wait_alu 0xfffd
	v_add_co_ci_u32_e32 v33, vcc_lo, s3, v37, vcc_lo
	v_add_co_u32 v34, vcc_lo, v32, s2
	global_load_b128 v[48:51], v[36:37], off
	s_wait_alu 0xfffd
	v_add_co_ci_u32_e32 v35, vcc_lo, s3, v33, vcc_lo
	v_add_co_u32 v36, vcc_lo, v34, s2
	s_clause 0x1
	global_load_b128 v[52:55], v[32:33], off
	global_load_b128 v[56:59], v[34:35], off
	s_wait_alu 0xfffd
	v_add_co_ci_u32_e32 v37, vcc_lo, s3, v35, vcc_lo
	v_add_co_u32 v32, vcc_lo, v36, s2
	s_wait_alu 0xfffd
	s_delay_alu instid0(VALU_DEP_2) | instskip(NEXT) | instid1(VALU_DEP_2)
	v_add_co_ci_u32_e32 v33, vcc_lo, s3, v37, vcc_lo
	v_add_co_u32 v34, vcc_lo, v32, s2
	global_load_b128 v[60:63], v[36:37], off
	s_wait_alu 0xfffd
	v_add_co_ci_u32_e32 v35, vcc_lo, s3, v33, vcc_lo
	v_add_co_u32 v36, vcc_lo, v34, s2
	global_load_b128 v[64:67], v[32:33], off
	s_wait_alu 0xfffd
	v_add_co_ci_u32_e32 v37, vcc_lo, s3, v35, vcc_lo
	v_add_co_u32 v77, vcc_lo, v36, s2
	s_wait_alu 0xfffd
	s_delay_alu instid0(VALU_DEP_2)
	v_add_co_ci_u32_e32 v78, vcc_lo, s3, v37, vcc_lo
	global_load_b128 v[68:71], v[34:35], off
	global_load_b128 v[32:35], v142, s[8:9] offset:32000
	global_load_b128 v[73:76], v[36:37], off
	global_load_b128 v[36:39], v142, s[8:9] offset:36000
	global_load_b128 v[77:80], v[77:78], off
	s_load_b128 s[4:7], s[6:7], 0x0
	s_mov_b32 s2, 0x4755a5e
	s_mov_b32 s3, 0x3fe2cf23
	s_wait_alu 0xfffe
	s_mov_b32 s12, s2
	s_wait_loadcnt 0xb
	v_mul_f64_e32 v[81:82], v[42:43], v[2:3]
	v_mul_f64_e32 v[83:84], v[40:41], v[2:3]
	s_wait_loadcnt 0xa
	v_mul_f64_e32 v[85:86], v[46:47], v[6:7]
	v_mul_f64_e32 v[87:88], v[44:45], v[6:7]
	;; [unrolled: 3-line block ×10, first 2 shown]
	v_fma_f64 v[40:41], v[40:41], v[0:1], v[81:82]
	v_fma_f64 v[42:43], v[42:43], v[0:1], -v[83:84]
	v_fma_f64 v[44:45], v[44:45], v[4:5], v[85:86]
	v_fma_f64 v[46:47], v[46:47], v[4:5], -v[87:88]
	;; [unrolled: 2-line block ×10, first 2 shown]
	ds_store_b128 v142, v[40:43]
	ds_store_b128 v142, v[44:47] offset:4000
	ds_store_b128 v142, v[48:51] offset:8000
	;; [unrolled: 1-line block ×9, first 2 shown]
	global_wb scope:SCOPE_SE
	s_wait_dscnt 0x0
	s_wait_kmcnt 0x0
	s_barrier_signal -1
	s_barrier_wait -1
	global_inv scope:SCOPE_SE
	ds_load_b128 v[40:43], v142 offset:20000
	ds_load_b128 v[44:47], v142 offset:28000
	;; [unrolled: 1-line block ×5, first 2 shown]
	s_wait_dscnt 0x3
	v_add_f64_e32 v[60:61], v[40:41], v[44:45]
	v_add_f64_e32 v[73:74], v[42:43], v[46:47]
	s_wait_dscnt 0x1
	v_add_f64_e32 v[62:63], v[54:55], v[50:51]
	v_add_f64_e32 v[64:65], v[52:53], v[48:49]
	v_add_f64_e64 v[81:82], v[54:55], -v[50:51]
	v_add_f64_e64 v[83:84], v[42:43], -v[46:47]
	v_add_f64_e64 v[85:86], v[40:41], -v[44:45]
	v_add_f64_e64 v[93:94], v[52:53], -v[48:49]
	v_add_f64_e64 v[105:106], v[52:53], -v[40:41]
	v_add_f64_e64 v[107:108], v[48:49], -v[44:45]
	v_add_f64_e64 v[109:110], v[40:41], -v[52:53]
	v_add_f64_e64 v[111:112], v[44:45], -v[48:49]
	v_add_f64_e64 v[113:114], v[42:43], -v[54:55]
	v_add_f64_e64 v[115:116], v[46:47], -v[50:51]
	v_add_f64_e64 v[117:118], v[54:55], -v[42:43]
	v_add_f64_e64 v[125:126], v[50:51], -v[46:47]
	s_wait_dscnt 0x0
	v_add_f64_e32 v[52:53], v[56:57], v[52:53]
	v_add_f64_e32 v[54:55], v[58:59], v[54:55]
	v_fma_f64 v[87:88], v[60:61], -0.5, v[56:57]
	v_fma_f64 v[95:96], v[73:74], -0.5, v[58:59]
	;; [unrolled: 1-line block ×4, first 2 shown]
	ds_load_b128 v[60:63], v142 offset:16000
	ds_load_b128 v[64:67], v142 offset:24000
	;; [unrolled: 1-line block ×4, first 2 shown]
	ds_load_b128 v[77:80], v142
	global_wb scope:SCOPE_SE
	s_wait_dscnt 0x0
	s_barrier_signal -1
	s_barrier_wait -1
	global_inv scope:SCOPE_SE
	v_add_f64_e32 v[40:41], v[52:53], v[40:41]
	v_add_f64_e32 v[42:43], v[54:55], v[42:43]
	;; [unrolled: 1-line block ×8, first 2 shown]
	v_add_f64_e64 v[131:132], v[75:76], -v[70:71]
	v_add_f64_e64 v[133:134], v[62:63], -v[66:67]
	;; [unrolled: 1-line block ×4, first 2 shown]
	v_fma_f64 v[119:120], v[81:82], s[14:15], v[87:88]
	v_fma_f64 v[87:88], v[81:82], s[16:17], v[87:88]
	;; [unrolled: 1-line block ×8, first 2 shown]
	v_add_f64_e32 v[40:41], v[40:41], v[44:45]
	v_add_f64_e32 v[42:43], v[42:43], v[46:47]
	v_fma_f64 v[56:57], v[97:98], -0.5, v[77:78]
	v_fma_f64 v[97:98], v[101:102], -0.5, v[79:80]
	;; [unrolled: 1-line block ×4, first 2 shown]
	v_add_f64_e32 v[99:100], v[105:106], v[107:108]
	v_add_f64_e32 v[101:102], v[109:110], v[111:112]
	;; [unrolled: 1-line block ×3, first 2 shown]
	v_add_f64_e64 v[115:116], v[75:76], -v[62:63]
	v_add_f64_e64 v[75:76], v[62:63], -v[75:76]
	v_add_f64_e32 v[62:63], v[135:136], v[62:63]
	v_add_f64_e64 v[111:112], v[68:69], -v[64:65]
	v_add_f64_e64 v[113:114], v[64:65], -v[68:69]
	v_fma_f64 v[105:106], v[83:84], s[2:3], v[119:120]
	s_wait_alu 0xfffe
	v_fma_f64 v[83:84], v[83:84], s[12:13], v[87:88]
	v_fma_f64 v[107:108], v[93:94], s[12:13], v[121:122]
	;; [unrolled: 1-line block ×5, first 2 shown]
	v_add_f64_e32 v[87:88], v[117:118], v[125:126]
	v_fma_f64 v[91:92], v[85:86], s[2:3], v[127:128]
	v_add_f64_e64 v[93:94], v[73:74], -v[60:61]
	v_add_f64_e64 v[73:74], v[60:61], -v[73:74]
	v_add_f64_e32 v[60:61], v[129:130], v[60:61]
	v_add_f64_e64 v[117:118], v[70:71], -v[66:67]
	v_add_f64_e64 v[119:120], v[66:67], -v[70:71]
	v_fma_f64 v[85:86], v[85:86], s[12:13], v[95:96]
	v_add_f64_e32 v[48:49], v[40:41], v[48:49]
	v_add_f64_e32 v[50:51], v[42:43], v[50:51]
	v_fma_f64 v[52:53], v[131:132], s[14:15], v[56:57]
	v_fma_f64 v[54:55], v[131:132], s[16:17], v[56:57]
	;; [unrolled: 1-line block ×8, first 2 shown]
	v_add_f64_e32 v[62:63], v[62:63], v[66:67]
	v_fma_f64 v[95:96], v[99:100], s[18:19], v[105:106]
	v_fma_f64 v[83:84], v[99:100], s[18:19], v[83:84]
	;; [unrolled: 1-line block ×7, first 2 shown]
	v_add_f64_e32 v[93:94], v[93:94], v[111:112]
	v_add_f64_e32 v[73:74], v[73:74], v[113:114]
	;; [unrolled: 1-line block ×5, first 2 shown]
	v_add_co_u32 v116, null, 0xfa, v141
	s_delay_alu instid0(VALU_DEP_1)
	v_and_b32_e32 v40, 0xffff, v116
	v_fma_f64 v[44:45], v[133:134], s[2:3], v[52:53]
	v_fma_f64 v[46:47], v[133:134], s[12:13], v[54:55]
	;; [unrolled: 1-line block ×9, first 2 shown]
	v_add_f64_e32 v[62:63], v[62:63], v[70:71]
	v_mul_f64_e32 v[79:80], s[20:21], v[95:96]
	v_mul_f64_e32 v[95:96], s[12:13], v[95:96]
	;; [unrolled: 1-line block ×8, first 2 shown]
	v_add_f64_e32 v[60:61], v[60:61], v[68:69]
	v_fma_f64 v[68:69], v[93:94], s[18:19], v[44:45]
	v_fma_f64 v[70:71], v[93:94], s[18:19], v[46:47]
	;; [unrolled: 1-line block ×7, first 2 shown]
	v_and_b32_e32 v73, 0xff, v72
	v_fma_f64 v[99:100], v[99:100], s[18:19], v[58:59]
	v_add_f64_e32 v[42:43], v[62:63], v[50:51]
	v_add_f64_e64 v[46:47], v[62:63], -v[50:51]
	v_fma_f64 v[64:65], v[77:78], s[2:3], v[79:80]
	v_fma_f64 v[76:77], v[77:78], s[20:21], v[95:96]
	;; [unrolled: 1-line block ×8, first 2 shown]
	v_mul_u32_u24_e32 v92, 0xcccd, v40
	v_mul_lo_u16 v91, 0xcd, v73
	v_add_f64_e32 v[40:41], v[60:61], v[48:49]
	v_add_f64_e64 v[44:45], v[60:61], -v[48:49]
	v_mul_lo_u16 v73, v73, 41
	v_add_f64_e32 v[48:49], v[68:69], v[64:65]
	v_add_f64_e32 v[50:51], v[113:114], v[76:77]
	;; [unrolled: 1-line block ×8, first 2 shown]
	v_add_f64_e64 v[64:65], v[68:69], -v[64:65]
	v_add_f64_e64 v[68:69], v[93:94], -v[66:67]
	;; [unrolled: 1-line block ×8, first 2 shown]
	v_lshrrev_b16 v75, 11, v91
	v_lshrrev_b32_e32 v74, 19, v92
	v_mul_lo_u16 v86, v72, 10
	s_delay_alu instid0(VALU_DEP_3) | instskip(NEXT) | instid1(VALU_DEP_3)
	v_mul_lo_u16 v76, v75, 10
	v_mul_lo_u16 v77, v74, 10
	s_delay_alu instid0(VALU_DEP_3) | instskip(SKIP_1) | instid1(VALU_DEP_4)
	v_and_b32_e32 v86, 0xffff, v86
	v_and_b32_e32 v75, 0xffff, v75
	v_sub_nc_u16 v76, v72, v76
	s_delay_alu instid0(VALU_DEP_4) | instskip(NEXT) | instid1(VALU_DEP_4)
	v_sub_nc_u16 v77, v116, v77
	v_lshlrev_b32_e32 v143, 4, v86
	ds_store_b128 v143, v[40:43]
	ds_store_b128 v143, v[44:47] offset:80
	ds_store_b128 v143, v[48:51] offset:16
	;; [unrolled: 1-line block ×9, first 2 shown]
	v_and_b32_e32 v76, 0xff, v76
	v_lshlrev_b16 v87, 2, v77
	global_wb scope:SCOPE_SE
	s_wait_dscnt 0x0
	s_barrier_signal -1
	s_barrier_wait -1
	v_lshlrev_b32_e32 v86, 6, v76
	v_and_b32_e32 v87, 0xffff, v87
	global_inv scope:SCOPE_SE
	s_clause 0x2
	global_load_b128 v[52:55], v86, s[10:11]
	global_load_b128 v[44:47], v86, s[10:11] offset:16
	global_load_b128 v[40:43], v86, s[10:11] offset:32
	v_lshlrev_b32_e32 v56, 4, v87
	s_clause 0x4
	global_load_b128 v[48:51], v86, s[10:11] offset:48
	global_load_b128 v[68:71], v56, s[10:11]
	global_load_b128 v[64:67], v56, s[10:11] offset:16
	global_load_b128 v[60:63], v56, s[10:11] offset:32
	;; [unrolled: 1-line block ×3, first 2 shown]
	ds_load_b128 v[78:81], v142 offset:8000
	ds_load_b128 v[82:85], v142 offset:16000
	;; [unrolled: 1-line block ×8, first 2 shown]
	s_wait_loadcnt_dscnt 0x707
	v_mul_f64_e32 v[117:118], v[78:79], v[54:55]
	s_wait_loadcnt_dscnt 0x606
	v_mul_f64_e32 v[112:113], v[84:85], v[46:47]
	;; [unrolled: 2-line block ×3, first 2 shown]
	v_mul_f64_e32 v[121:122], v[82:83], v[46:47]
	v_mul_f64_e32 v[123:124], v[86:87], v[42:43]
	;; [unrolled: 1-line block ×3, first 2 shown]
	s_wait_loadcnt_dscnt 0x404
	v_mul_f64_e32 v[119:120], v[92:93], v[50:51]
	v_mul_f64_e32 v[125:126], v[90:91], v[50:51]
	s_wait_loadcnt_dscnt 0x202
	v_mul_f64_e32 v[129:130], v[100:101], v[66:67]
	s_wait_loadcnt_dscnt 0x101
	v_mul_f64_e32 v[131:132], v[104:105], v[62:63]
	v_mul_f64_e32 v[137:138], v[98:99], v[66:67]
	;; [unrolled: 1-line block ×5, first 2 shown]
	s_wait_loadcnt_dscnt 0x0
	v_mul_f64_e32 v[135:136], v[108:109], v[58:59]
	v_mul_f64_e32 v[146:147], v[106:107], v[58:59]
	v_fma_f64 v[112:113], v[82:83], v[44:45], -v[112:113]
	v_fma_f64 v[86:87], v[86:87], v[40:41], -v[114:115]
	v_fma_f64 v[114:115], v[80:81], v[52:53], v[117:118]
	v_fma_f64 v[117:118], v[84:85], v[44:45], v[121:122]
	;; [unrolled: 1-line block ×3, first 2 shown]
	v_fma_f64 v[110:111], v[78:79], v[52:53], -v[110:111]
	v_fma_f64 v[90:91], v[90:91], v[48:49], -v[119:120]
	v_fma_f64 v[92:93], v[92:93], v[48:49], v[125:126]
	v_fma_f64 v[98:99], v[98:99], v[64:65], -v[129:130]
	v_fma_f64 v[102:103], v[102:103], v[60:61], -v[131:132]
	v_fma_f64 v[100:101], v[100:101], v[64:65], v[137:138]
	v_fma_f64 v[104:105], v[104:105], v[60:61], v[144:145]
	v_fma_f64 v[94:95], v[94:95], v[68:69], -v[127:128]
	v_fma_f64 v[96:97], v[96:97], v[68:69], v[133:134]
	v_fma_f64 v[106:107], v[106:107], v[56:57], -v[135:136]
	v_fma_f64 v[108:109], v[108:109], v[56:57], v[146:147]
	ds_load_b128 v[78:81], v142
	ds_load_b128 v[82:85], v142 offset:4000
	global_wb scope:SCOPE_SE
	s_wait_dscnt 0x0
	s_barrier_signal -1
	s_barrier_wait -1
	global_inv scope:SCOPE_SE
	v_add_f64_e32 v[119:120], v[112:113], v[86:87]
	v_add_f64_e32 v[146:147], v[80:81], v[114:115]
	v_add_f64_e64 v[162:163], v[114:115], -v[117:118]
	v_add_f64_e32 v[123:124], v[117:118], v[88:89]
	v_add_f64_e32 v[135:136], v[78:79], v[110:111]
	;; [unrolled: 1-line block ×4, first 2 shown]
	v_add_f64_e64 v[137:138], v[114:115], -v[92:93]
	v_add_f64_e32 v[127:128], v[98:99], v[102:103]
	v_add_f64_e64 v[152:153], v[110:111], -v[90:91]
	v_add_f64_e32 v[131:132], v[100:101], v[104:105]
	v_add_f64_e32 v[148:149], v[82:83], v[94:95]
	v_add_f64_e64 v[144:145], v[117:118], -v[88:89]
	v_add_f64_e32 v[129:130], v[94:95], v[106:107]
	v_add_f64_e32 v[133:134], v[96:97], v[108:109]
	;; [unrolled: 1-line block ×3, first 2 shown]
	v_add_f64_e64 v[154:155], v[96:97], -v[108:109]
	v_add_f64_e64 v[156:157], v[94:95], -v[106:107]
	;; [unrolled: 1-line block ×15, first 2 shown]
	v_fma_f64 v[119:120], v[119:120], -0.5, v[78:79]
	v_add_f64_e32 v[117:118], v[146:147], v[117:118]
	v_fma_f64 v[123:124], v[123:124], -0.5, v[80:81]
	v_fma_f64 v[78:79], v[121:122], -0.5, v[78:79]
	v_add_f64_e64 v[121:122], v[112:113], -v[86:87]
	v_fma_f64 v[80:81], v[125:126], -0.5, v[80:81]
	v_fma_f64 v[127:128], v[127:128], -0.5, v[82:83]
	v_add_f64_e64 v[125:126], v[100:101], -v[104:105]
	;; [unrolled: 3-line block ×3, first 2 shown]
	v_fma_f64 v[84:85], v[133:134], -0.5, v[84:85]
	v_add_f64_e64 v[133:134], v[110:111], -v[112:113]
	v_add_f64_e64 v[110:111], v[112:113], -v[110:111]
	v_add_f64_e32 v[112:113], v[135:136], v[112:113]
	v_add_f64_e32 v[98:99], v[148:149], v[98:99]
	v_add_f64_e32 v[100:101], v[150:151], v[100:101]
	v_add_f64_e32 v[114:115], v[114:115], v[166:167]
	v_add_f64_e32 v[166:167], v[96:97], v[178:179]
	v_fma_f64 v[135:136], v[137:138], s[14:15], v[119:120]
	v_fma_f64 v[119:120], v[137:138], s[16:17], v[119:120]
	v_add_f64_e32 v[88:89], v[117:118], v[88:89]
	v_fma_f64 v[148:149], v[152:153], s[16:17], v[123:124]
	v_fma_f64 v[123:124], v[152:153], s[14:15], v[123:124]
	;; [unrolled: 1-line block ×14, first 2 shown]
	v_add_f64_e32 v[133:134], v[133:134], v[158:159]
	v_add_f64_e32 v[86:87], v[112:113], v[86:87]
	;; [unrolled: 1-line block ×9, first 2 shown]
	v_fma_f64 v[98:99], v[144:145], s[2:3], v[135:136]
	v_fma_f64 v[100:101], v[144:145], s[12:13], v[119:120]
	;; [unrolled: 1-line block ×16, first 2 shown]
	v_add_f64_e32 v[80:81], v[88:89], v[92:93]
	v_add_f64_e32 v[78:79], v[86:87], v[90:91]
	;; [unrolled: 1-line block ×4, first 2 shown]
	v_lshrrev_b16 v109, 11, v73
	s_delay_alu instid0(VALU_DEP_1) | instskip(SKIP_1) | instid1(VALU_DEP_2)
	v_mul_lo_u16 v73, v109, 50
	v_and_b32_e32 v109, 0xffff, v109
	v_sub_nc_u16 v72, v72, v73
	v_mad_u16 v73, v74, 50, v77
	v_mul_u32_u24_e32 v74, 50, v75
	s_delay_alu instid0(VALU_DEP_4)
	v_mul_u32_u24_e32 v109, 0x1f4, v109
	v_fma_f64 v[86:87], v[133:134], s[18:19], v[98:99]
	v_fma_f64 v[90:91], v[133:134], s[18:19], v[100:101]
	v_and_b32_e32 v108, 0xff, v72
	v_fma_f64 v[88:89], v[158:159], s[18:19], v[112:113]
	v_fma_f64 v[92:93], v[158:159], s[18:19], v[117:118]
	;; [unrolled: 1-line block ×14, first 2 shown]
	v_add_lshl_u32 v145, v74, v76, 4
	v_mad_co_u64_u32 v[76:77], null, 0x90, v108, s[10:11]
	v_and_b32_e32 v72, 0xffff, v73
	s_delay_alu instid0(VALU_DEP_1)
	v_lshlrev_b32_e32 v144, 4, v72
	ds_store_b128 v145, v[78:81]
	ds_store_b128 v145, v[86:89] offset:160
	ds_store_b128 v145, v[94:97] offset:320
	;; [unrolled: 1-line block ×4, first 2 shown]
	ds_store_b128 v144, v[82:85]
	ds_store_b128 v144, v[102:105] offset:160
	ds_store_b128 v144, v[117:120] offset:320
	;; [unrolled: 1-line block ×4, first 2 shown]
	global_wb scope:SCOPE_SE
	s_wait_dscnt 0x0
	s_barrier_signal -1
	s_barrier_wait -1
	global_inv scope:SCOPE_SE
	s_clause 0x8
	global_load_b128 v[92:95], v[76:77], off offset:672
	global_load_b128 v[100:103], v[76:77], off offset:704
	global_load_b128 v[96:99], v[76:77], off offset:736
	global_load_b128 v[104:107], v[76:77], off offset:768
	global_load_b128 v[72:75], v[76:77], off offset:640
	global_load_b128 v[88:91], v[76:77], off offset:656
	global_load_b128 v[84:87], v[76:77], off offset:688
	global_load_b128 v[80:83], v[76:77], off offset:720
	global_load_b128 v[76:79], v[76:77], off offset:752
	ds_load_b128 v[110:113], v142 offset:12000
	ds_load_b128 v[117:120], v142 offset:20000
	;; [unrolled: 1-line block ×6, first 2 shown]
	s_wait_loadcnt_dscnt 0x805
	v_mul_f64_e32 v[114:115], v[112:113], v[94:95]
	v_mul_f64_e32 v[137:138], v[110:111], v[94:95]
	s_wait_loadcnt_dscnt 0x704
	v_mul_f64_e32 v[146:147], v[119:120], v[102:103]
	v_mul_f64_e32 v[148:149], v[117:118], v[102:103]
	s_wait_loadcnt_dscnt 0x603
	v_mul_f64_e32 v[150:151], v[121:122], v[98:99]
	s_wait_loadcnt_dscnt 0x502
	v_mul_f64_e32 v[152:153], v[125:126], v[106:107]
	v_mul_f64_e32 v[154:155], v[127:128], v[106:107]
	v_mul_f64_e32 v[156:157], v[123:124], v[98:99]
	s_wait_loadcnt_dscnt 0x401
	v_mul_f64_e32 v[158:159], v[131:132], v[74:75]
	v_mul_f64_e32 v[160:161], v[129:130], v[74:75]
	v_fma_f64 v[114:115], v[110:111], v[92:93], -v[114:115]
	v_fma_f64 v[137:138], v[112:113], v[92:93], v[137:138]
	v_fma_f64 v[146:147], v[117:118], v[100:101], -v[146:147]
	v_fma_f64 v[148:149], v[119:120], v[100:101], v[148:149]
	v_fma_f64 v[150:151], v[123:124], v[96:97], v[150:151]
	;; [unrolled: 1-line block ×3, first 2 shown]
	v_fma_f64 v[125:126], v[125:126], v[104:105], -v[154:155]
	v_fma_f64 v[152:153], v[121:122], v[96:97], -v[156:157]
	ds_load_b128 v[110:113], v142 offset:16000
	ds_load_b128 v[117:120], v142 offset:24000
	;; [unrolled: 1-line block ×3, first 2 shown]
	s_wait_loadcnt_dscnt 0x303
	v_mul_f64_e32 v[154:155], v[135:136], v[90:91]
	v_mul_f64_e32 v[156:157], v[133:134], v[90:91]
	v_fma_f64 v[129:130], v[129:130], v[72:73], -v[158:159]
	v_fma_f64 v[131:132], v[131:132], v[72:73], v[160:161]
	s_wait_loadcnt_dscnt 0x202
	v_mul_f64_e32 v[162:163], v[112:113], v[86:87]
	v_mul_f64_e32 v[164:165], v[110:111], v[86:87]
	s_wait_loadcnt_dscnt 0x101
	v_mul_f64_e32 v[166:167], v[119:120], v[82:83]
	s_wait_loadcnt_dscnt 0x0
	v_mul_f64_e32 v[168:169], v[123:124], v[78:79]
	v_mul_f64_e32 v[170:171], v[117:118], v[82:83]
	;; [unrolled: 1-line block ×3, first 2 shown]
	v_add_f64_e64 v[182:183], v[114:115], -v[146:147]
	v_add_f64_e64 v[186:187], v[146:147], -v[114:115]
	v_add_f64_e32 v[158:159], v[148:149], v[150:151]
	v_add_f64_e32 v[160:161], v[137:138], v[127:128]
	;; [unrolled: 1-line block ×4, first 2 shown]
	v_add_f64_e64 v[184:185], v[125:126], -v[152:153]
	v_fma_f64 v[133:134], v[133:134], v[88:89], -v[154:155]
	v_fma_f64 v[135:136], v[135:136], v[88:89], v[156:157]
	v_add_f64_e64 v[188:189], v[152:153], -v[125:126]
	v_add_f64_e64 v[190:191], v[137:138], -v[148:149]
	;; [unrolled: 1-line block ×5, first 2 shown]
	v_fma_f64 v[154:155], v[110:111], v[84:85], -v[162:163]
	v_fma_f64 v[156:157], v[112:113], v[84:85], v[164:165]
	v_fma_f64 v[117:118], v[117:118], v[80:81], -v[166:167]
	v_fma_f64 v[121:122], v[121:122], v[76:77], -v[168:169]
	v_fma_f64 v[119:120], v[119:120], v[80:81], v[170:171]
	v_fma_f64 v[123:124], v[123:124], v[76:77], v[172:173]
	v_add_f64_e64 v[162:163], v[137:138], -v[127:128]
	v_add_f64_e64 v[164:165], v[148:149], -v[150:151]
	;; [unrolled: 1-line block ×4, first 2 shown]
	ds_load_b128 v[110:113], v142
	v_add_f64_e32 v[114:115], v[129:130], v[114:115]
	global_wb scope:SCOPE_SE
	s_wait_dscnt 0x0
	s_barrier_signal -1
	s_barrier_wait -1
	global_inv scope:SCOPE_SE
	v_fma_f64 v[158:159], v[158:159], -0.5, v[131:132]
	v_fma_f64 v[160:161], v[160:161], -0.5, v[131:132]
	;; [unrolled: 1-line block ×4, first 2 shown]
	v_add_f64_e32 v[129:130], v[131:132], v[137:138]
	v_add_f64_e32 v[206:207], v[110:111], v[133:134]
	;; [unrolled: 1-line block ×7, first 2 shown]
	v_add_f64_e64 v[208:209], v[135:136], -v[123:124]
	v_add_f64_e64 v[210:211], v[156:157], -v[119:120]
	;; [unrolled: 1-line block ×4, first 2 shown]
	v_add_f64_e32 v[114:115], v[114:115], v[146:147]
	v_fma_f64 v[198:199], v[166:167], s[16:17], v[158:159]
	v_fma_f64 v[200:201], v[168:169], s[14:15], v[160:161]
	;; [unrolled: 1-line block ×8, first 2 shown]
	v_add_f64_e32 v[129:130], v[129:130], v[148:149]
	v_fma_f64 v[131:132], v[174:175], -0.5, v[110:111]
	v_fma_f64 v[110:111], v[176:177], -0.5, v[110:111]
	;; [unrolled: 1-line block ×4, first 2 shown]
	v_add_f64_e32 v[174:175], v[182:183], v[184:185]
	v_add_f64_e32 v[176:177], v[186:187], v[188:189]
	v_add_f64_e32 v[178:179], v[190:191], v[192:193]
	v_add_f64_e32 v[180:181], v[194:195], v[196:197]
	v_add_f64_e64 v[190:191], v[123:124], -v[119:120]
	v_add_f64_e64 v[192:193], v[119:120], -v[123:124]
	v_add_f64_e32 v[114:115], v[114:115], v[152:153]
	v_fma_f64 v[182:183], v[168:169], s[12:13], v[198:199]
	v_fma_f64 v[184:185], v[166:167], s[12:13], v[200:201]
	;; [unrolled: 1-line block ×8, first 2 shown]
	v_add_f64_e64 v[166:167], v[133:134], -v[154:155]
	v_add_f64_e64 v[133:134], v[154:155], -v[133:134]
	;; [unrolled: 1-line block ×4, first 2 shown]
	v_add_f64_e32 v[154:155], v[206:207], v[154:155]
	v_add_f64_e32 v[156:157], v[212:213], v[156:157]
	v_add_f64_e64 v[168:169], v[121:122], -v[117:118]
	v_add_f64_e64 v[170:171], v[117:118], -v[121:122]
	v_add_f64_e32 v[129:130], v[129:130], v[150:151]
	v_fma_f64 v[146:147], v[208:209], s[14:15], v[131:132]
	v_fma_f64 v[148:149], v[210:211], s[16:17], v[110:111]
	;; [unrolled: 1-line block ×8, first 2 shown]
	v_add_f64_e32 v[114:115], v[114:115], v[125:126]
	v_fma_f64 v[182:183], v[178:179], s[18:19], v[182:183]
	v_fma_f64 v[184:185], v[180:181], s[18:19], v[184:185]
	;; [unrolled: 1-line block ×8, first 2 shown]
	v_add_f64_e32 v[135:136], v[135:136], v[192:193]
	v_add_f64_e32 v[117:118], v[154:155], v[117:118]
	;; [unrolled: 1-line block ×6, first 2 shown]
	v_fma_f64 v[146:147], v[210:211], s[2:3], v[146:147]
	v_fma_f64 v[148:149], v[208:209], s[2:3], v[148:149]
	;; [unrolled: 1-line block ×8, first 2 shown]
	v_mul_f64_e32 v[154:155], s[2:3], v[182:183]
	v_mul_f64_e32 v[156:157], s[14:15], v[184:185]
	;; [unrolled: 1-line block ×8, first 2 shown]
	v_add_f64_e32 v[117:118], v[117:118], v[121:122]
	v_add_f64_e32 v[119:120], v[119:120], v[123:124]
	;; [unrolled: 1-line block ×3, first 2 shown]
	v_fma_f64 v[146:147], v[166:167], s[18:19], v[146:147]
	v_fma_f64 v[190:191], v[133:134], s[18:19], v[148:149]
	;; [unrolled: 1-line block ×16, first 2 shown]
	v_add_f64_e32 v[110:111], v[117:118], v[114:115]
	v_add_f64_e64 v[117:118], v[117:118], -v[114:115]
	v_add_f64_e32 v[112:113], v[119:120], v[121:122]
	v_add_f64_e64 v[119:120], v[119:120], -v[121:122]
	v_add_f64_e32 v[121:122], v[146:147], v[151:152]
	v_add_f64_e32 v[125:126], v[190:191], v[153:154]
	;; [unrolled: 1-line block ×8, first 2 shown]
	v_add_f64_e64 v[147:148], v[146:147], -v[151:152]
	v_add_f64_e64 v[149:150], v[149:150], -v[161:162]
	;; [unrolled: 1-line block ×8, first 2 shown]
	v_add_lshl_u32 v146, v109, v108, 4
	v_lshlrev_b32_e32 v137, 6, v141
	ds_store_b128 v146, v[110:113]
	ds_store_b128 v146, v[117:120] offset:4000
	ds_store_b128 v146, v[121:124] offset:800
	;; [unrolled: 1-line block ×9, first 2 shown]
	v_lshlrev_b32_e32 v124, 6, v116
	global_wb scope:SCOPE_SE
	s_wait_dscnt 0x0
	s_barrier_signal -1
	s_barrier_wait -1
	global_inv scope:SCOPE_SE
	s_clause 0x7
	global_load_b128 v[112:115], v137, s[10:11] offset:7840
	global_load_b128 v[108:111], v137, s[10:11] offset:7856
	;; [unrolled: 1-line block ×8, first 2 shown]
	ds_load_b128 v[147:150], v142 offset:8000
	ds_load_b128 v[151:154], v142 offset:16000
	;; [unrolled: 1-line block ×8, first 2 shown]
	s_wait_loadcnt_dscnt 0x505
	v_mul_f64_e32 v[187:188], v[157:158], v[122:123]
	v_mul_f64_e32 v[189:190], v[155:156], v[122:123]
	s_wait_loadcnt_dscnt 0x404
	v_mul_f64_e32 v[191:192], v[161:162], v[118:119]
	v_mul_f64_e32 v[179:180], v[149:150], v[114:115]
	;; [unrolled: 1-line block ×6, first 2 shown]
	s_wait_loadcnt_dscnt 0x303
	v_mul_f64_e32 v[195:196], v[165:166], v[138:139]
	v_mul_f64_e32 v[197:198], v[163:164], v[138:139]
	s_wait_loadcnt_dscnt 0x202
	v_mul_f64_e32 v[199:200], v[169:170], v[134:135]
	v_mul_f64_e32 v[201:202], v[167:168], v[134:135]
	s_wait_loadcnt_dscnt 0x101
	v_mul_f64_e32 v[203:204], v[173:174], v[130:131]
	s_wait_loadcnt_dscnt 0x0
	v_mul_f64_e32 v[205:206], v[177:178], v[126:127]
	v_mul_f64_e32 v[207:208], v[171:172], v[130:131]
	;; [unrolled: 1-line block ×3, first 2 shown]
	v_fma_f64 v[155:156], v[155:156], v[120:121], -v[187:188]
	v_fma_f64 v[157:158], v[157:158], v[120:121], v[189:190]
	v_fma_f64 v[159:160], v[159:160], v[116:117], -v[191:192]
	v_fma_f64 v[179:180], v[147:148], v[112:113], -v[179:180]
	v_fma_f64 v[181:182], v[149:150], v[112:113], v[181:182]
	v_fma_f64 v[183:184], v[151:152], v[108:109], -v[183:184]
	v_fma_f64 v[185:186], v[153:154], v[108:109], v[185:186]
	v_fma_f64 v[161:162], v[161:162], v[116:117], v[193:194]
	v_fma_f64 v[163:164], v[163:164], v[136:137], -v[195:196]
	v_fma_f64 v[165:166], v[165:166], v[136:137], v[197:198]
	v_fma_f64 v[167:168], v[167:168], v[132:133], -v[199:200]
	v_fma_f64 v[169:170], v[169:170], v[132:133], v[201:202]
	v_fma_f64 v[171:172], v[171:172], v[128:129], -v[203:204]
	v_fma_f64 v[175:176], v[175:176], v[124:125], -v[205:206]
	v_fma_f64 v[173:174], v[173:174], v[128:129], v[207:208]
	v_fma_f64 v[177:178], v[177:178], v[124:125], v[209:210]
	ds_load_b128 v[147:150], v142
	ds_load_b128 v[151:154], v142 offset:4000
	v_add_f64_e64 v[205:206], v[159:160], -v[155:156]
	v_add_f64_e32 v[189:190], v[179:180], v[159:160]
	v_add_f64_e64 v[209:210], v[155:156], -v[159:160]
	v_add_f64_e32 v[187:188], v[183:184], v[155:156]
	v_add_f64_e32 v[191:192], v[185:186], v[157:158]
	;; [unrolled: 1-line block ×3, first 2 shown]
	v_add_f64_e64 v[203:204], v[179:180], -v[183:184]
	v_add_f64_e64 v[207:208], v[183:184], -v[179:180]
	;; [unrolled: 1-line block ×4, first 2 shown]
	v_add_f64_e32 v[195:196], v[167:168], v[171:172]
	v_add_f64_e32 v[197:198], v[163:164], v[175:176]
	;; [unrolled: 1-line block ×4, first 2 shown]
	v_add_f64_e64 v[215:216], v[185:186], -v[181:182]
	v_add_f64_e64 v[217:218], v[157:158], -v[161:162]
	s_wait_dscnt 0x1
	v_add_f64_e32 v[219:220], v[149:150], v[181:182]
	v_add_f64_e32 v[221:222], v[147:148], v[179:180]
	s_wait_dscnt 0x0
	v_add_f64_e32 v[223:224], v[151:152], v[163:164]
	v_add_f64_e32 v[225:226], v[153:154], v[165:166]
	v_add_f64_e64 v[181:182], v[181:182], -v[161:162]
	v_add_f64_e64 v[179:180], v[179:180], -v[159:160]
	v_fma_f64 v[187:188], v[187:188], -0.5, v[147:148]
	v_fma_f64 v[147:148], v[189:190], -0.5, v[147:148]
	;; [unrolled: 1-line block ×4, first 2 shown]
	v_add_f64_e64 v[191:192], v[163:164], -v[167:168]
	v_add_f64_e64 v[193:194], v[175:176], -v[171:172]
	v_add_f64_e32 v[203:204], v[203:204], v[205:206]
	v_fma_f64 v[195:196], v[195:196], -0.5, v[151:152]
	v_fma_f64 v[151:152], v[197:198], -0.5, v[151:152]
	;; [unrolled: 1-line block ×4, first 2 shown]
	v_add_f64_e64 v[199:200], v[167:168], -v[163:164]
	v_add_f64_e64 v[201:202], v[171:172], -v[175:176]
	;; [unrolled: 1-line block ×3, first 2 shown]
	v_add_f64_e32 v[207:208], v[207:208], v[209:210]
	v_add_f64_e64 v[209:210], v[177:178], -v[173:174]
	v_add_f64_e32 v[211:212], v[211:212], v[213:214]
	v_add_f64_e64 v[213:214], v[169:170], -v[165:166]
	v_add_f64_e32 v[215:216], v[215:216], v[217:218]
	v_add_f64_e64 v[217:218], v[173:174], -v[177:178]
	v_add_f64_e32 v[219:220], v[219:220], v[185:186]
	v_add_f64_e64 v[185:186], v[185:186], -v[157:158]
	v_add_f64_e32 v[221:222], v[221:222], v[183:184]
	v_add_f64_e64 v[183:184], v[183:184], -v[155:156]
	v_add_f64_e64 v[165:166], v[165:166], -v[177:178]
	v_add_f64_e64 v[163:164], v[163:164], -v[175:176]
	v_add_f64_e32 v[223:224], v[223:224], v[167:168]
	v_add_f64_e32 v[225:226], v[225:226], v[169:170]
	v_add_f64_e64 v[169:170], v[169:170], -v[173:174]
	v_add_f64_e64 v[167:168], v[167:168], -v[171:172]
	v_add_f64_e32 v[191:192], v[191:192], v[193:194]
	v_add_f64_e32 v[193:194], v[199:200], v[201:202]
	;; [unrolled: 1-line block ×3, first 2 shown]
	v_fma_f64 v[205:206], v[181:182], s[14:15], v[187:188]
	v_fma_f64 v[187:188], v[181:182], s[16:17], v[187:188]
	v_add_f64_e32 v[201:202], v[213:214], v[217:218]
	v_fma_f64 v[213:214], v[179:180], s[16:17], v[189:190]
	v_fma_f64 v[209:210], v[185:186], s[16:17], v[147:148]
	v_fma_f64 v[189:190], v[179:180], s[14:15], v[189:190]
	v_fma_f64 v[217:218], v[183:184], s[14:15], v[149:150]
	v_add_f64_e32 v[155:156], v[221:222], v[155:156]
	v_fma_f64 v[221:222], v[165:166], s[14:15], v[195:196]
	v_add_f64_e32 v[157:158], v[219:220], v[157:158]
	v_fma_f64 v[219:220], v[163:164], s[16:17], v[197:198]
	v_fma_f64 v[147:148], v[185:186], s[14:15], v[147:148]
	;; [unrolled: 1-line block ×3, first 2 shown]
	v_add_f64_e32 v[171:172], v[223:224], v[171:172]
	v_fma_f64 v[223:224], v[169:170], s[16:17], v[151:152]
	v_add_f64_e32 v[173:174], v[225:226], v[173:174]
	v_fma_f64 v[225:226], v[167:168], s[14:15], v[153:154]
	v_fma_f64 v[151:152], v[169:170], s[14:15], v[151:152]
	;; [unrolled: 1-line block ×15, first 2 shown]
	v_add_f64_e32 v[147:148], v[155:156], v[159:160]
	v_fma_f64 v[219:220], v[165:166], s[2:3], v[223:224]
	v_add_f64_e32 v[149:150], v[157:158], v[161:162]
	v_fma_f64 v[221:222], v[163:164], s[12:13], v[225:226]
	v_fma_f64 v[223:224], v[165:166], s[12:13], v[151:152]
	;; [unrolled: 1-line block ×5, first 2 shown]
	v_add_f64_e32 v[151:152], v[171:172], v[175:176]
	v_add_f64_e32 v[153:154], v[173:174], v[177:178]
	v_fma_f64 v[155:156], v[203:204], s[18:19], v[205:206]
	v_fma_f64 v[159:160], v[203:204], s[18:19], v[185:186]
	v_fma_f64 v[163:164], v[207:208], s[18:19], v[187:188]
	v_fma_f64 v[157:158], v[211:212], s[18:19], v[209:210]
	v_fma_f64 v[161:162], v[211:212], s[18:19], v[183:184]
	v_fma_f64 v[165:166], v[215:216], s[18:19], v[189:190]
	v_fma_f64 v[171:172], v[191:192], s[18:19], v[213:214]
	v_fma_f64 v[173:174], v[199:200], s[18:19], v[217:218]
	v_fma_f64 v[167:168], v[207:208], s[18:19], v[181:182]
	v_fma_f64 v[169:170], v[215:216], s[18:19], v[179:180]
	v_fma_f64 v[175:176], v[193:194], s[18:19], v[219:220]
	v_fma_f64 v[177:178], v[201:202], s[18:19], v[221:222]
	v_fma_f64 v[179:180], v[193:194], s[18:19], v[223:224]
	v_fma_f64 v[181:182], v[201:202], s[18:19], v[225:226]
	v_fma_f64 v[183:184], v[191:192], s[18:19], v[195:196]
	v_fma_f64 v[185:186], v[199:200], s[18:19], v[197:198]
	ds_store_b128 v142, v[151:154] offset:4000
	ds_store_b128 v142, v[147:150]
	ds_store_b128 v142, v[155:158] offset:8000
	ds_store_b128 v142, v[163:166] offset:16000
	;; [unrolled: 1-line block ×8, first 2 shown]
	global_wb scope:SCOPE_SE
	s_wait_dscnt 0x0
	s_barrier_signal -1
	s_barrier_wait -1
	global_inv scope:SCOPE_SE
	global_load_b128 v[147:150], v142, s[8:9] offset:40000
	s_add_nc_u64 s[8:9], s[8:9], 0x9c40
	s_clause 0x8
	global_load_b128 v[151:154], v142, s[8:9] offset:4000
	global_load_b128 v[155:158], v142, s[8:9] offset:8000
	;; [unrolled: 1-line block ×9, first 2 shown]
	ds_load_b128 v[187:190], v142
	ds_load_b128 v[191:194], v142 offset:4000
	ds_load_b128 v[195:198], v142 offset:8000
	;; [unrolled: 1-line block ×5, first 2 shown]
	s_wait_loadcnt_dscnt 0x804
	v_mul_f64_e32 v[213:214], v[193:194], v[153:154]
	v_mul_f64_e32 v[153:154], v[191:192], v[153:154]
	s_wait_loadcnt_dscnt 0x703
	v_mul_f64_e32 v[215:216], v[197:198], v[157:158]
	v_mul_f64_e32 v[157:158], v[195:196], v[157:158]
	;; [unrolled: 3-line block ×3, first 2 shown]
	v_mul_f64_e32 v[149:150], v[187:188], v[149:150]
	v_mul_f64_e32 v[161:162], v[199:200], v[161:162]
	s_wait_loadcnt_dscnt 0x400
	v_mul_f64_e32 v[219:220], v[209:210], v[169:170]
	v_mul_f64_e32 v[169:170], v[207:208], v[169:170]
	v_fma_f64 v[199:200], v[199:200], v[159:160], -v[217:218]
	v_fma_f64 v[187:188], v[187:188], v[147:148], -v[211:212]
	v_mul_f64_e32 v[211:212], v[205:206], v[165:166]
	v_fma_f64 v[189:190], v[189:190], v[147:148], v[149:150]
	v_fma_f64 v[147:148], v[191:192], v[151:152], -v[213:214]
	v_fma_f64 v[149:150], v[193:194], v[151:152], v[153:154]
	ds_load_b128 v[151:154], v142 offset:24000
	v_fma_f64 v[191:192], v[195:196], v[155:156], -v[215:216]
	v_fma_f64 v[193:194], v[197:198], v[155:156], v[157:158]
	ds_load_b128 v[155:158], v142 offset:28000
	ds_load_b128 v[195:198], v142 offset:32000
	v_fma_f64 v[201:202], v[201:202], v[159:160], v[161:162]
	ds_load_b128 v[159:162], v142 offset:36000
	v_mul_f64_e32 v[165:166], v[203:204], v[165:166]
	s_wait_loadcnt_dscnt 0x303
	v_mul_f64_e32 v[213:214], v[153:154], v[173:174]
	v_mul_f64_e32 v[173:174], v[151:152], v[173:174]
	s_wait_loadcnt_dscnt 0x202
	v_mul_f64_e32 v[215:216], v[157:158], v[177:178]
	;; [unrolled: 3-line block ×3, first 2 shown]
	v_mul_f64_e32 v[185:186], v[159:160], v[185:186]
	v_fma_f64 v[203:204], v[203:204], v[163:164], -v[211:212]
	v_mul_f64_e32 v[211:212], v[197:198], v[181:182]
	v_mul_f64_e32 v[181:182], v[195:196], v[181:182]
	v_fma_f64 v[205:206], v[205:206], v[163:164], v[165:166]
	v_fma_f64 v[163:164], v[207:208], v[167:168], -v[219:220]
	v_fma_f64 v[165:166], v[209:210], v[167:168], v[169:170]
	v_fma_f64 v[151:152], v[151:152], v[171:172], -v[213:214]
	;; [unrolled: 2-line block ×5, first 2 shown]
	v_fma_f64 v[169:170], v[197:198], v[179:180], v[181:182]
	ds_store_b128 v142, v[147:150] offset:4000
	ds_store_b128 v142, v[191:194] offset:8000
	;; [unrolled: 1-line block ×8, first 2 shown]
	ds_store_b128 v142, v[187:190]
	ds_store_b128 v142, v[159:162] offset:36000
	global_wb scope:SCOPE_SE
	s_wait_dscnt 0x0
	s_barrier_signal -1
	s_barrier_wait -1
	global_inv scope:SCOPE_SE
	ds_load_b128 v[147:150], v142 offset:36000
	ds_load_b128 v[151:154], v142 offset:12000
	;; [unrolled: 1-line block ×9, first 2 shown]
	ds_load_b128 v[183:186], v142
	global_wb scope:SCOPE_SE
	s_wait_dscnt 0x0
	s_barrier_signal -1
	s_barrier_wait -1
	global_inv scope:SCOPE_SE
	v_add_f64_e32 v[187:188], v[153:154], v[149:150]
	v_add_f64_e32 v[193:194], v[151:152], v[147:148]
	;; [unrolled: 1-line block ×4, first 2 shown]
	v_add_f64_e64 v[211:212], v[155:156], -v[159:160]
	v_add_f64_e32 v[203:204], v[179:180], v[151:152]
	v_add_f64_e32 v[205:206], v[181:182], v[153:154]
	;; [unrolled: 1-line block ×3, first 2 shown]
	v_add_f64_e64 v[213:214], v[151:152], -v[155:156]
	v_add_f64_e64 v[215:216], v[147:148], -v[159:160]
	;; [unrolled: 1-line block ×5, first 2 shown]
	v_add_f64_e32 v[195:196], v[163:164], v[167:168]
	v_add_f64_e32 v[197:198], v[175:176], v[171:172]
	v_add_f64_e32 v[199:200], v[165:166], v[169:170]
	v_add_f64_e32 v[201:202], v[177:178], v[173:174]
	v_add_f64_e32 v[207:208], v[183:184], v[175:176]
	v_add_f64_e64 v[223:224], v[157:158], -v[161:162]
	v_add_f64_e64 v[151:152], v[155:156], -v[151:152]
	;; [unrolled: 1-line block ×3, first 2 shown]
	v_fma_f64 v[187:188], v[187:188], -0.5, v[181:182]
	v_fma_f64 v[181:182], v[189:190], -0.5, v[181:182]
	v_add_f64_e64 v[189:190], v[153:154], -v[149:150]
	v_fma_f64 v[191:192], v[191:192], -0.5, v[179:180]
	v_fma_f64 v[179:180], v[193:194], -0.5, v[179:180]
	v_add_f64_e64 v[153:154], v[157:158], -v[153:154]
	v_add_f64_e64 v[193:194], v[161:162], -v[149:150]
	v_add_f64_e32 v[155:156], v[203:204], v[155:156]
	v_add_f64_e32 v[157:158], v[205:206], v[157:158]
	v_add_f64_e64 v[203:204], v[177:178], -v[165:166]
	v_add_f64_e64 v[177:178], v[165:166], -v[177:178]
	;; [unrolled: 1-line block ×3, first 2 shown]
	v_add_f64_e32 v[165:166], v[209:210], v[165:166]
	v_add_f64_e64 v[209:210], v[159:160], -v[147:148]
	v_add_f64_e32 v[213:214], v[213:214], v[215:216]
	v_add_f64_e32 v[219:220], v[219:220], v[221:222]
	v_fma_f64 v[195:196], v[195:196], -0.5, v[183:184]
	v_fma_f64 v[183:184], v[197:198], -0.5, v[183:184]
	;; [unrolled: 1-line block ×4, first 2 shown]
	v_add_f64_e64 v[199:200], v[175:176], -v[171:172]
	v_add_f64_e64 v[201:202], v[175:176], -v[163:164]
	;; [unrolled: 1-line block ×3, first 2 shown]
	v_add_f64_e32 v[207:208], v[207:208], v[163:164]
	v_add_f64_e64 v[163:164], v[163:164], -v[167:168]
	v_fma_f64 v[215:216], v[211:212], s[16:17], v[187:188]
	v_fma_f64 v[187:188], v[211:212], s[14:15], v[187:188]
	;; [unrolled: 1-line block ×4, first 2 shown]
	v_add_f64_e32 v[153:154], v[153:154], v[193:194]
	v_fma_f64 v[193:194], v[189:190], s[16:17], v[191:192]
	v_fma_f64 v[191:192], v[189:190], s[14:15], v[191:192]
	v_add_f64_e32 v[155:156], v[155:156], v[159:160]
	v_add_f64_e32 v[157:158], v[157:158], v[161:162]
	;; [unrolled: 1-line block ×4, first 2 shown]
	v_add_f64_e64 v[209:210], v[171:172], -v[167:168]
	v_fma_f64 v[215:216], v[217:218], s[2:3], v[215:216]
	v_fma_f64 v[187:188], v[217:218], s[12:13], v[187:188]
	v_add_f64_e64 v[217:218], v[167:168], -v[171:172]
	v_fma_f64 v[221:222], v[211:212], s[2:3], v[221:222]
	v_fma_f64 v[181:182], v[211:212], s[12:13], v[181:182]
	;; [unrolled: 1-line block ×4, first 2 shown]
	v_add_f64_e32 v[167:168], v[207:208], v[167:168]
	v_fma_f64 v[193:194], v[223:224], s[12:13], v[193:194]
	v_fma_f64 v[191:192], v[223:224], s[2:3], v[191:192]
	;; [unrolled: 1-line block ×4, first 2 shown]
	v_add_f64_e32 v[155:156], v[155:156], v[147:148]
	v_add_f64_e32 v[165:166], v[165:166], v[173:174]
	;; [unrolled: 1-line block ×4, first 2 shown]
	v_add_f64_e64 v[209:210], v[173:174], -v[169:170]
	v_fma_f64 v[215:216], v[153:154], s[18:19], v[215:216]
	v_fma_f64 v[153:154], v[153:154], s[18:19], v[187:188]
	v_add_f64_e32 v[175:176], v[175:176], v[217:218]
	v_add_f64_e64 v[217:218], v[169:170], -v[173:174]
	v_fma_f64 v[187:188], v[199:200], s[14:15], v[197:198]
	v_fma_f64 v[211:212], v[189:190], s[12:13], v[211:212]
	;; [unrolled: 1-line block ×12, first 2 shown]
	v_add_f64_e32 v[203:204], v[203:204], v[209:210]
	v_fma_f64 v[161:162], v[205:206], s[2:3], v[195:196]
	v_fma_f64 v[191:192], v[213:214], s[18:19], v[191:192]
	v_add_f64_e32 v[167:168], v[167:168], v[171:172]
	v_add_f64_e32 v[149:150], v[165:166], v[157:158]
	v_mul_f64_e32 v[209:210], s[18:19], v[215:216]
	v_add_f64_e32 v[177:178], v[177:178], v[217:218]
	v_fma_f64 v[187:188], v[163:164], s[2:3], v[187:188]
	v_fma_f64 v[195:196], v[151:152], s[18:19], v[211:212]
	;; [unrolled: 1-line block ×6, first 2 shown]
	v_mul_f64_e32 v[179:180], s[12:13], v[221:222]
	v_mul_f64_e32 v[197:198], s[16:17], v[215:216]
	v_fma_f64 v[189:190], v[199:200], s[2:3], v[219:220]
	v_fma_f64 v[185:186], v[199:200], s[12:13], v[185:186]
	v_mul_f64_e32 v[207:208], s[2:3], v[193:194]
	v_mul_f64_e32 v[199:200], s[16:17], v[153:154]
	;; [unrolled: 1-line block ×5, first 2 shown]
	v_fma_f64 v[171:172], v[201:202], s[18:19], v[159:160]
	v_fma_f64 v[173:174], v[201:202], s[18:19], v[161:162]
	v_add_f64_e32 v[147:148], v[167:168], v[155:156]
	v_fma_f64 v[187:188], v[203:204], s[18:19], v[187:188]
	v_fma_f64 v[201:202], v[175:176], s[18:19], v[169:170]
	;; [unrolled: 1-line block ×14, first 2 shown]
	v_add_f64_e64 v[151:152], v[167:168], -v[155:156]
	v_add_f64_e64 v[153:154], v[165:166], -v[157:158]
	v_add_f64_e32 v[155:156], v[171:172], v[175:176]
	v_add_f64_e64 v[171:172], v[171:172], -v[175:176]
	v_add_f64_e32 v[159:160], v[201:202], v[177:178]
	v_add_f64_e32 v[157:158], v[187:188], v[197:198]
	;; [unrolled: 1-line block ×7, first 2 shown]
	v_add_f64_e64 v[179:180], v[183:184], -v[179:180]
	v_add_f64_e64 v[183:184], v[173:174], -v[193:194]
	;; [unrolled: 1-line block ×7, first 2 shown]
	ds_store_b128 v143, v[147:150]
	ds_store_b128 v143, v[151:154] offset:80
	ds_store_b128 v143, v[155:158] offset:16
	;; [unrolled: 1-line block ×9, first 2 shown]
	global_wb scope:SCOPE_SE
	s_wait_dscnt 0x0
	s_barrier_signal -1
	s_barrier_wait -1
	global_inv scope:SCOPE_SE
	ds_load_b128 v[147:150], v142 offset:8000
	ds_load_b128 v[151:154], v142 offset:16000
	;; [unrolled: 1-line block ×8, first 2 shown]
	s_wait_dscnt 0x7
	v_mul_f64_e32 v[179:180], v[54:55], v[149:150]
	s_wait_dscnt 0x6
	v_mul_f64_e32 v[181:182], v[46:47], v[153:154]
	;; [unrolled: 2-line block ×3, first 2 shown]
	v_mul_f64_e32 v[54:55], v[54:55], v[147:148]
	v_mul_f64_e32 v[46:47], v[46:47], v[151:152]
	;; [unrolled: 1-line block ×3, first 2 shown]
	s_wait_dscnt 0x4
	v_mul_f64_e32 v[185:186], v[50:51], v[161:162]
	v_mul_f64_e32 v[50:51], v[50:51], v[159:160]
	s_wait_dscnt 0x2
	v_mul_f64_e32 v[189:190], v[66:67], v[169:170]
	s_wait_dscnt 0x1
	v_mul_f64_e32 v[191:192], v[62:63], v[173:174]
	v_mul_f64_e32 v[66:67], v[66:67], v[167:168]
	;; [unrolled: 1-line block ×5, first 2 shown]
	s_wait_dscnt 0x0
	v_mul_f64_e32 v[193:194], v[58:59], v[177:178]
	v_mul_f64_e32 v[58:59], v[58:59], v[175:176]
	v_fma_f64 v[147:148], v[52:53], v[147:148], v[179:180]
	v_fma_f64 v[151:152], v[44:45], v[151:152], v[181:182]
	;; [unrolled: 1-line block ×3, first 2 shown]
	v_fma_f64 v[52:53], v[52:53], v[149:150], -v[54:55]
	v_fma_f64 v[149:150], v[44:45], v[153:154], -v[46:47]
	;; [unrolled: 1-line block ×3, first 2 shown]
	v_fma_f64 v[54:55], v[48:49], v[159:160], v[185:186]
	v_fma_f64 v[48:49], v[48:49], v[161:162], -v[50:51]
	v_fma_f64 v[157:158], v[64:65], v[167:168], v[189:190]
	v_fma_f64 v[159:160], v[60:61], v[171:172], v[191:192]
	v_fma_f64 v[64:65], v[64:65], v[169:170], -v[66:67]
	v_fma_f64 v[60:61], v[60:61], v[173:174], -v[62:63]
	v_fma_f64 v[50:51], v[68:69], v[163:164], v[187:188]
	v_fma_f64 v[68:69], v[68:69], v[165:166], -v[70:71]
	v_fma_f64 v[70:71], v[56:57], v[175:176], v[193:194]
	v_fma_f64 v[56:57], v[56:57], v[177:178], -v[58:59]
	ds_load_b128 v[40:43], v142
	ds_load_b128 v[44:47], v142 offset:4000
	global_wb scope:SCOPE_SE
	s_wait_dscnt 0x0
	s_barrier_signal -1
	s_barrier_wait -1
	global_inv scope:SCOPE_SE
	v_add_f64_e32 v[171:172], v[40:41], v[147:148]
	v_add_f64_e32 v[58:59], v[151:152], v[155:156]
	;; [unrolled: 1-line block ×3, first 2 shown]
	v_add_f64_e64 v[193:194], v[52:53], -v[149:150]
	v_add_f64_e32 v[66:67], v[149:150], v[153:154]
	v_add_f64_e32 v[62:63], v[147:148], v[54:55]
	;; [unrolled: 1-line block ×3, first 2 shown]
	v_add_f64_e64 v[173:174], v[52:53], -v[48:49]
	v_add_f64_e32 v[163:164], v[157:158], v[159:160]
	v_add_f64_e64 v[183:184], v[147:148], -v[54:55]
	v_add_f64_e32 v[167:168], v[64:65], v[60:61]
	v_add_f64_e32 v[179:180], v[44:45], v[50:51]
	v_add_f64_e32 v[181:182], v[46:47], v[68:69]
	v_add_f64_e32 v[165:166], v[50:51], v[70:71]
	v_add_f64_e32 v[169:170], v[68:69], v[56:57]
	v_add_f64_e64 v[175:176], v[149:150], -v[153:154]
	v_add_f64_e64 v[185:186], v[68:69], -v[56:57]
	v_add_f64_e64 v[187:188], v[50:51], -v[70:71]
	v_add_f64_e64 v[189:190], v[54:55], -v[155:156]
	v_add_f64_e64 v[191:192], v[155:156], -v[54:55]
	v_add_f64_e64 v[195:196], v[48:49], -v[153:154]
	v_add_f64_e64 v[52:53], v[149:150], -v[52:53]
	v_add_f64_e64 v[197:198], v[153:154], -v[48:49]
	v_add_f64_e64 v[199:200], v[50:51], -v[157:158]
	v_add_f64_e64 v[50:51], v[157:158], -v[50:51]
	v_add_f64_e64 v[203:204], v[159:160], -v[70:71]
	v_add_f64_e64 v[205:206], v[68:69], -v[64:65]
	v_add_f64_e64 v[68:69], v[64:65], -v[68:69]
	v_add_f64_e64 v[201:202], v[70:71], -v[159:160]
	v_add_f64_e64 v[209:210], v[60:61], -v[56:57]
	v_add_f64_e64 v[207:208], v[56:57], -v[60:61]
	v_fma_f64 v[58:59], v[58:59], -0.5, v[40:41]
	v_add_f64_e32 v[149:150], v[177:178], v[149:150]
	v_fma_f64 v[66:67], v[66:67], -0.5, v[42:43]
	v_fma_f64 v[40:41], v[62:63], -0.5, v[40:41]
	v_add_f64_e64 v[62:63], v[151:152], -v[155:156]
	v_fma_f64 v[42:43], v[161:162], -0.5, v[42:43]
	v_fma_f64 v[163:164], v[163:164], -0.5, v[44:45]
	v_add_f64_e64 v[161:162], v[64:65], -v[60:61]
	v_fma_f64 v[167:168], v[167:168], -0.5, v[46:47]
	v_add_f64_e32 v[64:65], v[181:182], v[64:65]
	v_fma_f64 v[44:45], v[165:166], -0.5, v[44:45]
	v_add_f64_e64 v[165:166], v[157:158], -v[159:160]
	v_fma_f64 v[46:47], v[169:170], -0.5, v[46:47]
	v_add_f64_e64 v[169:170], v[147:148], -v[151:152]
	v_add_f64_e64 v[147:148], v[151:152], -v[147:148]
	v_add_f64_e32 v[151:152], v[171:172], v[151:152]
	v_add_f64_e32 v[157:158], v[179:180], v[157:158]
	v_fma_f64 v[171:172], v[173:174], s[16:17], v[58:59]
	v_fma_f64 v[58:59], v[173:174], s[14:15], v[58:59]
	;; [unrolled: 1-line block ×16, first 2 shown]
	v_add_f64_e32 v[169:170], v[169:170], v[189:190]
	v_add_f64_e32 v[147:148], v[147:148], v[191:192]
	;; [unrolled: 1-line block ×12, first 2 shown]
	v_fma_f64 v[64:65], v[175:176], s[12:13], v[171:172]
	v_fma_f64 v[58:59], v[175:176], s[2:3], v[58:59]
	;; [unrolled: 1-line block ×16, first 2 shown]
	v_add_f64_e32 v[40:41], v[50:51], v[54:55]
	v_add_f64_e32 v[42:43], v[52:53], v[48:49]
	;; [unrolled: 1-line block ×4, first 2 shown]
	v_fma_f64 v[48:49], v[169:170], s[18:19], v[64:65]
	v_fma_f64 v[52:53], v[169:170], s[18:19], v[58:59]
	;; [unrolled: 1-line block ×16, first 2 shown]
	ds_store_b128 v145, v[40:43]
	ds_store_b128 v145, v[48:51] offset:160
	ds_store_b128 v145, v[56:59] offset:320
	ds_store_b128 v145, v[60:63] offset:480
	ds_store_b128 v145, v[52:55] offset:640
	ds_store_b128 v144, v[44:47]
	ds_store_b128 v144, v[64:67] offset:160
	ds_store_b128 v144, v[147:150] offset:320
	;; [unrolled: 1-line block ×4, first 2 shown]
	global_wb scope:SCOPE_SE
	s_wait_dscnt 0x0
	s_barrier_signal -1
	s_barrier_wait -1
	global_inv scope:SCOPE_SE
	ds_load_b128 v[40:43], v142 offset:12000
	ds_load_b128 v[44:47], v142 offset:20000
	;; [unrolled: 1-line block ×6, first 2 shown]
	s_wait_dscnt 0x5
	v_mul_f64_e32 v[64:65], v[94:95], v[40:41]
	s_wait_dscnt 0x4
	v_mul_f64_e32 v[66:67], v[102:103], v[44:45]
	;; [unrolled: 2-line block ×5, first 2 shown]
	v_mul_f64_e32 v[94:95], v[94:95], v[42:43]
	v_mul_f64_e32 v[102:103], v[102:103], v[46:47]
	v_mul_f64_e32 v[98:99], v[98:99], v[50:51]
	v_mul_f64_e32 v[106:107], v[106:107], v[54:55]
	v_mul_f64_e32 v[74:75], v[74:75], v[58:59]
	v_fma_f64 v[151:152], v[92:93], v[42:43], -v[64:65]
	v_fma_f64 v[46:47], v[100:101], v[46:47], -v[66:67]
	;; [unrolled: 1-line block ×4, first 2 shown]
	ds_load_b128 v[64:67], v142 offset:16000
	ds_load_b128 v[68:71], v142 offset:24000
	;; [unrolled: 1-line block ×3, first 2 shown]
	s_wait_dscnt 0x3
	v_mul_f64_e32 v[42:43], v[90:91], v[62:63]
	v_mul_f64_e32 v[90:91], v[90:91], v[60:61]
	v_fma_f64 v[92:93], v[92:93], v[40:41], v[94:95]
	v_fma_f64 v[44:45], v[100:101], v[44:45], v[102:103]
	;; [unrolled: 1-line block ×4, first 2 shown]
	v_fma_f64 v[58:59], v[72:73], v[58:59], -v[143:144]
	v_fma_f64 v[56:57], v[72:73], v[56:57], v[74:75]
	s_wait_dscnt 0x2
	v_mul_f64_e32 v[153:154], v[86:87], v[66:67]
	v_mul_f64_e32 v[86:87], v[86:87], v[64:65]
	s_wait_dscnt 0x1
	v_mul_f64_e32 v[155:156], v[82:83], v[70:71]
	s_wait_dscnt 0x0
	v_mul_f64_e32 v[157:158], v[78:79], v[149:150]
	v_mul_f64_e32 v[82:83], v[82:83], v[68:69]
	;; [unrolled: 1-line block ×3, first 2 shown]
	v_add_f64_e64 v[100:101], v[151:152], -v[46:47]
	v_add_f64_e32 v[40:41], v[46:47], v[50:51]
	v_add_f64_e32 v[94:95], v[151:152], v[54:55]
	v_add_f64_e64 v[98:99], v[151:152], -v[54:55]
	v_fma_f64 v[60:61], v[88:89], v[60:61], v[42:43]
	v_fma_f64 v[62:63], v[88:89], v[62:63], -v[90:91]
	v_add_f64_e64 v[102:103], v[54:55], -v[50:51]
	v_add_f64_e64 v[104:105], v[46:47], -v[151:152]
	v_add_f64_e32 v[72:73], v[44:45], v[48:49]
	v_add_f64_e32 v[74:75], v[92:93], v[52:53]
	v_add_f64_e64 v[106:107], v[50:51], -v[54:55]
	v_add_f64_e64 v[143:144], v[46:47], -v[50:51]
	v_add_f64_e64 v[161:162], v[92:93], -v[44:45]
	v_add_f64_e64 v[163:164], v[52:53], -v[48:49]
	v_add_f64_e64 v[165:166], v[48:49], -v[52:53]
	v_fma_f64 v[64:65], v[84:85], v[64:65], v[153:154]
	v_fma_f64 v[66:67], v[84:85], v[66:67], -v[86:87]
	v_fma_f64 v[68:69], v[80:81], v[68:69], v[155:156]
	v_fma_f64 v[84:85], v[76:77], v[147:148], v[157:158]
	v_fma_f64 v[70:71], v[80:81], v[70:71], -v[82:83]
	v_fma_f64 v[76:77], v[76:77], v[149:150], -v[78:79]
	v_add_f64_e64 v[78:79], v[92:93], -v[52:53]
	v_add_f64_e64 v[80:81], v[44:45], -v[48:49]
	v_fma_f64 v[82:83], v[40:41], -0.5, v[58:59]
	v_fma_f64 v[86:87], v[94:95], -0.5, v[58:59]
	ds_load_b128 v[40:43], v142
	v_add_f64_e32 v[58:59], v[58:59], v[151:152]
	global_wb scope:SCOPE_SE
	s_wait_dscnt 0x0
	s_barrier_signal -1
	s_barrier_wait -1
	v_fma_f64 v[72:73], v[72:73], -0.5, v[56:57]
	v_fma_f64 v[74:75], v[74:75], -0.5, v[56:57]
	v_add_f64_e32 v[56:57], v[56:57], v[92:93]
	v_add_f64_e64 v[92:93], v[44:45], -v[92:93]
	global_inv scope:SCOPE_SE
	v_add_f64_e64 v[167:168], v[62:63], -v[66:67]
	v_add_f64_e32 v[88:89], v[64:65], v[68:69]
	v_add_f64_e32 v[90:91], v[60:61], v[84:85]
	;; [unrolled: 1-line block ×6, first 2 shown]
	v_add_f64_e64 v[155:156], v[62:63], -v[76:77]
	v_add_f64_e64 v[151:152], v[60:61], -v[84:85]
	;; [unrolled: 1-line block ×6, first 2 shown]
	v_fma_f64 v[147:148], v[78:79], s[14:15], v[82:83]
	v_fma_f64 v[149:150], v[80:81], s[16:17], v[86:87]
	;; [unrolled: 1-line block ×4, first 2 shown]
	v_add_f64_e32 v[46:47], v[58:59], v[46:47]
	v_add_f64_e32 v[44:45], v[56:57], v[44:45]
	;; [unrolled: 1-line block ×4, first 2 shown]
	v_fma_f64 v[88:89], v[88:89], -0.5, v[40:41]
	v_fma_f64 v[40:41], v[90:91], -0.5, v[40:41]
	;; [unrolled: 1-line block ×4, first 2 shown]
	v_add_f64_e32 v[96:97], v[100:101], v[102:103]
	v_add_f64_e32 v[100:101], v[104:105], v[106:107]
	v_fma_f64 v[102:103], v[98:99], s[16:17], v[72:73]
	v_fma_f64 v[72:73], v[98:99], s[14:15], v[72:73]
	;; [unrolled: 1-line block ×4, first 2 shown]
	v_add_f64_e64 v[90:91], v[64:65], -v[68:69]
	v_add_f64_e32 v[66:67], v[159:160], v[66:67]
	v_add_f64_e32 v[62:63], v[62:63], v[171:172]
	v_fma_f64 v[106:107], v[80:81], s[2:3], v[147:148]
	v_fma_f64 v[147:148], v[78:79], s[2:3], v[149:150]
	;; [unrolled: 1-line block ×4, first 2 shown]
	v_add_f64_e64 v[82:83], v[60:61], -v[64:65]
	v_add_f64_e64 v[60:61], v[64:65], -v[60:61]
	v_add_f64_e32 v[64:65], v[153:154], v[64:65]
	v_add_f64_e64 v[86:87], v[84:85], -v[68:69]
	v_add_f64_e64 v[149:150], v[68:69], -v[84:85]
	v_add_f64_e32 v[44:45], v[44:45], v[48:49]
	v_add_f64_e32 v[46:47], v[46:47], v[50:51]
	v_fma_f64 v[58:59], v[155:156], s[16:17], v[88:89]
	v_fma_f64 v[88:89], v[155:156], s[14:15], v[88:89]
	;; [unrolled: 1-line block ×12, first 2 shown]
	v_add_f64_e32 v[66:67], v[66:67], v[70:71]
	v_fma_f64 v[98:99], v[96:97], s[18:19], v[106:107]
	v_fma_f64 v[106:107], v[100:101], s[18:19], v[147:148]
	;; [unrolled: 1-line block ×4, first 2 shown]
	v_add_f64_e32 v[64:65], v[64:65], v[68:69]
	v_add_f64_e32 v[82:83], v[82:83], v[86:87]
	;; [unrolled: 1-line block ×6, first 2 shown]
	v_fma_f64 v[48:49], v[157:158], s[12:13], v[58:59]
	v_fma_f64 v[50:51], v[157:158], s[2:3], v[88:89]
	;; [unrolled: 1-line block ×12, first 2 shown]
	v_add_f64_e32 v[66:67], v[66:67], v[76:77]
	v_mul_f64_e32 v[92:93], s[12:13], v[98:99]
	v_mul_f64_e32 v[98:99], s[20:21], v[98:99]
	;; [unrolled: 1-line block ×8, first 2 shown]
	v_add_f64_e32 v[64:65], v[64:65], v[84:85]
	v_fma_f64 v[76:77], v[82:83], s[18:19], v[48:49]
	v_fma_f64 v[82:83], v[82:83], s[18:19], v[50:51]
	;; [unrolled: 1-line block ×8, first 2 shown]
	v_add_f64_e32 v[42:43], v[66:67], v[46:47]
	v_add_f64_e64 v[46:47], v[66:67], -v[46:47]
	v_fma_f64 v[68:69], v[90:91], s[20:21], v[92:93]
	v_fma_f64 v[90:91], v[90:91], s[2:3], v[98:99]
	;; [unrolled: 1-line block ×8, first 2 shown]
	v_add_f64_e32 v[40:41], v[64:65], v[44:45]
	v_add_f64_e64 v[44:45], v[64:65], -v[44:45]
	v_add_f64_e32 v[48:49], v[76:77], v[68:69]
	v_add_f64_e32 v[50:51], v[106:107], v[90:91]
	;; [unrolled: 1-line block ×8, first 2 shown]
	v_add_f64_e64 v[64:65], v[76:77], -v[68:69]
	v_add_f64_e64 v[66:67], v[106:107], -v[90:91]
	v_add_f64_e64 v[68:69], v[84:85], -v[92:93]
	v_add_f64_e64 v[70:71], v[70:71], -v[98:99]
	v_add_f64_e64 v[72:73], v[104:105], -v[94:95]
	v_add_f64_e64 v[74:75], v[88:89], -v[74:75]
	v_add_f64_e64 v[76:77], v[82:83], -v[96:97]
	v_add_f64_e64 v[78:79], v[86:87], -v[78:79]
	ds_store_b128 v146, v[40:43]
	ds_store_b128 v146, v[44:47] offset:4000
	ds_store_b128 v146, v[48:51] offset:800
	ds_store_b128 v146, v[52:55] offset:1600
	ds_store_b128 v146, v[56:59] offset:2400
	ds_store_b128 v146, v[60:63] offset:3200
	ds_store_b128 v146, v[64:67] offset:4800
	ds_store_b128 v146, v[68:71] offset:5600
	ds_store_b128 v146, v[72:75] offset:6400
	ds_store_b128 v146, v[76:79] offset:7200
	global_wb scope:SCOPE_SE
	s_wait_dscnt 0x0
	s_barrier_signal -1
	s_barrier_wait -1
	global_inv scope:SCOPE_SE
	ds_load_b128 v[40:43], v142 offset:8000
	ds_load_b128 v[44:47], v142 offset:16000
	;; [unrolled: 1-line block ×8, first 2 shown]
	s_wait_dscnt 0x7
	v_mul_f64_e32 v[72:73], v[114:115], v[42:43]
	s_wait_dscnt 0x6
	v_mul_f64_e32 v[76:77], v[110:111], v[46:47]
	v_mul_f64_e32 v[78:79], v[110:111], v[44:45]
	s_wait_dscnt 0x5
	v_mul_f64_e32 v[80:81], v[122:123], v[50:51]
	v_mul_f64_e32 v[82:83], v[122:123], v[48:49]
	;; [unrolled: 1-line block ×3, first 2 shown]
	s_wait_dscnt 0x4
	v_mul_f64_e32 v[84:85], v[118:119], v[54:55]
	v_mul_f64_e32 v[86:87], v[118:119], v[52:53]
	s_wait_dscnt 0x2
	v_mul_f64_e32 v[92:93], v[134:135], v[62:63]
	v_mul_f64_e32 v[94:95], v[134:135], v[60:61]
	;; [unrolled: 3-line block ×3, first 2 shown]
	v_mul_f64_e32 v[88:89], v[138:139], v[58:59]
	v_mul_f64_e32 v[90:91], v[138:139], v[56:57]
	s_wait_dscnt 0x0
	v_mul_f64_e32 v[100:101], v[126:127], v[70:71]
	v_mul_f64_e32 v[102:103], v[126:127], v[68:69]
	v_fma_f64 v[72:73], v[112:113], v[40:41], v[72:73]
	v_fma_f64 v[76:77], v[108:109], v[44:45], v[76:77]
	v_fma_f64 v[78:79], v[108:109], v[46:47], -v[78:79]
	v_fma_f64 v[48:49], v[120:121], v[48:49], v[80:81]
	v_fma_f64 v[50:51], v[120:121], v[50:51], -v[82:83]
	v_fma_f64 v[74:75], v[112:113], v[42:43], -v[74:75]
	v_fma_f64 v[52:53], v[116:117], v[52:53], v[84:85]
	v_fma_f64 v[54:55], v[116:117], v[54:55], -v[86:87]
	v_fma_f64 v[60:61], v[132:133], v[60:61], v[92:93]
	;; [unrolled: 2-line block ×5, first 2 shown]
	v_fma_f64 v[70:71], v[124:125], v[70:71], -v[102:103]
	ds_load_b128 v[40:43], v142
	ds_load_b128 v[44:47], v142 offset:4000
	s_wait_dscnt 0x1
	v_add_f64_e32 v[96:97], v[40:41], v[72:73]
	v_add_f64_e32 v[80:81], v[76:77], v[48:49]
	;; [unrolled: 1-line block ×6, first 2 shown]
	v_add_f64_e64 v[98:99], v[74:75], -v[54:55]
	v_add_f64_e64 v[104:105], v[72:73], -v[52:53]
	v_add_f64_e32 v[88:89], v[60:61], v[64:65]
	v_add_f64_e32 v[90:91], v[62:63], v[66:67]
	s_wait_dscnt 0x0
	v_add_f64_e32 v[108:109], v[44:45], v[56:57]
	v_add_f64_e32 v[110:111], v[46:47], v[58:59]
	;; [unrolled: 1-line block ×4, first 2 shown]
	v_add_f64_e64 v[100:101], v[78:79], -v[50:51]
	v_add_f64_e64 v[106:107], v[76:77], -v[48:49]
	;; [unrolled: 1-line block ×17, first 2 shown]
	v_fma_f64 v[80:81], v[80:81], -0.5, v[40:41]
	v_fma_f64 v[84:85], v[84:85], -0.5, v[42:43]
	v_add_f64_e32 v[78:79], v[102:103], v[78:79]
	v_fma_f64 v[40:41], v[82:83], -0.5, v[40:41]
	v_fma_f64 v[42:43], v[86:87], -0.5, v[42:43]
	v_add_f64_e64 v[82:83], v[62:63], -v[66:67]
	v_add_f64_e64 v[86:87], v[60:61], -v[64:65]
	v_fma_f64 v[88:89], v[88:89], -0.5, v[44:45]
	v_fma_f64 v[90:91], v[90:91], -0.5, v[46:47]
	v_add_f64_e32 v[60:61], v[108:109], v[60:61]
	v_add_f64_e32 v[62:63], v[110:111], v[62:63]
	v_fma_f64 v[44:45], v[92:93], -0.5, v[44:45]
	v_fma_f64 v[46:47], v[94:95], -0.5, v[46:47]
	v_add_f64_e64 v[92:93], v[72:73], -v[76:77]
	v_add_f64_e64 v[94:95], v[52:53], -v[48:49]
	;; [unrolled: 1-line block ×3, first 2 shown]
	v_add_f64_e32 v[76:77], v[96:97], v[76:77]
	v_add_f64_e32 v[74:75], v[74:75], v[122:123]
	;; [unrolled: 1-line block ×3, first 2 shown]
	v_fma_f64 v[96:97], v[98:99], s[16:17], v[80:81]
	v_fma_f64 v[108:109], v[104:105], s[14:15], v[84:85]
	;; [unrolled: 1-line block ×16, first 2 shown]
	v_add_f64_e32 v[92:93], v[92:93], v[94:95]
	v_add_f64_e32 v[94:95], v[118:119], v[120:121]
	v_add_f64_e32 v[118:119], v[56:57], v[128:129]
	v_add_f64_e32 v[56:57], v[60:61], v[64:65]
	v_add_f64_e32 v[58:59], v[62:63], v[66:67]
	v_add_f64_e32 v[48:49], v[76:77], v[48:49]
	v_add_f64_e32 v[50:51], v[78:79], v[50:51]
	v_add_f64_e32 v[72:73], v[72:73], v[116:117]
	v_add_f64_e32 v[116:117], v[124:125], v[126:127]
	v_add_f64_e32 v[120:121], v[130:131], v[132:133]
	v_fma_f64 v[60:61], v[100:101], s[12:13], v[96:97]
	v_fma_f64 v[76:77], v[106:107], s[2:3], v[108:109]
	;; [unrolled: 1-line block ×16, first 2 shown]
	s_mov_b32 s2, 0xeb1c432d
	s_mov_b32 s3, 0x3f3a36e2
	v_add_f64_e32 v[44:45], v[56:57], v[68:69]
	v_add_f64_e32 v[46:47], v[58:59], v[70:71]
	;; [unrolled: 1-line block ×4, first 2 shown]
	v_fma_f64 v[48:49], v[92:93], s[18:19], v[60:61]
	v_fma_f64 v[50:51], v[94:95], s[18:19], v[76:77]
	;; [unrolled: 1-line block ×16, first 2 shown]
	v_mad_co_u64_u32 v[80:81], null, s6, v140, 0
	ds_store_b128 v142, v[44:47] offset:4000
	ds_store_b128 v142, v[40:43]
	ds_store_b128 v142, v[48:51] offset:8000
	ds_store_b128 v142, v[56:59] offset:16000
	;; [unrolled: 1-line block ×8, first 2 shown]
	global_wb scope:SCOPE_SE
	s_wait_dscnt 0x0
	s_barrier_signal -1
	s_barrier_wait -1
	global_inv scope:SCOPE_SE
	ds_load_b128 v[40:43], v142
	ds_load_b128 v[44:47], v142 offset:4000
	v_mad_co_u64_u32 v[82:83], null, s4, v141, 0
	ds_load_b128 v[48:51], v142 offset:8000
	ds_load_b128 v[52:55], v142 offset:12000
	;; [unrolled: 1-line block ×4, first 2 shown]
	v_mov_b32_e32 v72, v81
	ds_load_b128 v[64:67], v142 offset:24000
	ds_load_b128 v[68:71], v142 offset:28000
	v_mov_b32_e32 v81, v83
	v_mad_co_u64_u32 v[83:84], null, s7, v140, v[72:73]
	ds_load_b128 v[72:75], v142 offset:32000
	ds_load_b128 v[76:79], v142 offset:36000
	v_mad_co_u64_u32 v[84:85], null, s5, v141, v[81:82]
	s_wait_dscnt 0x9
	v_mul_f64_e32 v[85:86], v[2:3], v[42:43]
	v_mul_f64_e32 v[2:3], v[2:3], v[40:41]
	s_wait_dscnt 0x8
	v_mul_f64_e32 v[87:88], v[6:7], v[46:47]
	v_mul_f64_e32 v[6:7], v[6:7], v[44:45]
	;; [unrolled: 3-line block ×10, first 2 shown]
	v_mov_b32_e32 v81, v83
	v_mov_b32_e32 v83, v84
	s_delay_alu instid0(VALU_DEP_2) | instskip(NEXT) | instid1(VALU_DEP_2)
	v_lshlrev_b64_e32 v[80:81], 4, v[80:81]
	v_lshlrev_b64_e32 v[82:83], 4, v[82:83]
	s_delay_alu instid0(VALU_DEP_2) | instskip(SKIP_1) | instid1(VALU_DEP_3)
	v_add_co_u32 v80, vcc_lo, s0, v80
	s_wait_alu 0xfffd
	v_add_co_ci_u32_e32 v81, vcc_lo, s1, v81, vcc_lo
	s_mul_u64 s[0:1], s[4:5], 0xfa0
	s_delay_alu instid0(VALU_DEP_2)
	v_add_co_u32 v80, vcc_lo, v80, v82
	v_fma_f64 v[40:41], v[0:1], v[40:41], v[85:86]
	v_fma_f64 v[2:3], v[0:1], v[42:43], -v[2:3]
	v_fma_f64 v[42:43], v[4:5], v[44:45], v[87:88]
	v_fma_f64 v[6:7], v[4:5], v[46:47], -v[6:7]
	;; [unrolled: 2-line block ×10, first 2 shown]
	s_wait_alu 0xfffd
	v_add_co_ci_u32_e32 v81, vcc_lo, v81, v83, vcc_lo
	s_wait_alu 0xfffe
	v_add_co_u32 v60, vcc_lo, v80, s0
	s_wait_alu 0xfffd
	s_delay_alu instid0(VALU_DEP_2) | instskip(NEXT) | instid1(VALU_DEP_2)
	v_add_co_ci_u32_e32 v61, vcc_lo, s1, v81, vcc_lo
	v_add_co_u32 v62, vcc_lo, v60, s0
	s_wait_alu 0xfffd
	s_delay_alu instid0(VALU_DEP_2) | instskip(NEXT) | instid1(VALU_DEP_2)
	v_add_co_ci_u32_e32 v63, vcc_lo, s1, v61, vcc_lo
	v_add_co_u32 v64, vcc_lo, v62, s0
	s_wait_alu 0xfffd
	s_delay_alu instid0(VALU_DEP_2)
	v_add_co_ci_u32_e32 v65, vcc_lo, s1, v63, vcc_lo
	v_mul_f64_e32 v[0:1], s[2:3], v[40:41]
	v_mul_f64_e32 v[2:3], s[2:3], v[2:3]
	;; [unrolled: 1-line block ×20, first 2 shown]
	v_add_co_u32 v40, vcc_lo, v64, s0
	s_wait_alu 0xfffd
	v_add_co_ci_u32_e32 v41, vcc_lo, s1, v65, vcc_lo
	s_delay_alu instid0(VALU_DEP_2) | instskip(SKIP_1) | instid1(VALU_DEP_2)
	v_add_co_u32 v42, vcc_lo, v40, s0
	s_wait_alu 0xfffd
	v_add_co_ci_u32_e32 v43, vcc_lo, s1, v41, vcc_lo
	s_delay_alu instid0(VALU_DEP_2) | instskip(SKIP_1) | instid1(VALU_DEP_2)
	;; [unrolled: 4-line block ×5, first 2 shown]
	v_add_co_u32 v50, vcc_lo, v48, s0
	s_wait_alu 0xfffd
	v_add_co_ci_u32_e32 v51, vcc_lo, s1, v49, vcc_lo
	s_clause 0x4
	global_store_b128 v[80:81], v[0:3], off
	global_store_b128 v[60:61], v[4:7], off
	;; [unrolled: 1-line block ×10, first 2 shown]
.LBB0_2:
	s_nop 0
	s_sendmsg sendmsg(MSG_DEALLOC_VGPRS)
	s_endpgm
	.section	.rodata,"a",@progbits
	.p2align	6, 0x0
	.amdhsa_kernel bluestein_single_back_len2500_dim1_dp_op_CI_CI
		.amdhsa_group_segment_fixed_size 40000
		.amdhsa_private_segment_fixed_size 0
		.amdhsa_kernarg_size 104
		.amdhsa_user_sgpr_count 2
		.amdhsa_user_sgpr_dispatch_ptr 0
		.amdhsa_user_sgpr_queue_ptr 0
		.amdhsa_user_sgpr_kernarg_segment_ptr 1
		.amdhsa_user_sgpr_dispatch_id 0
		.amdhsa_user_sgpr_private_segment_size 0
		.amdhsa_wavefront_size32 1
		.amdhsa_uses_dynamic_stack 0
		.amdhsa_enable_private_segment 0
		.amdhsa_system_sgpr_workgroup_id_x 1
		.amdhsa_system_sgpr_workgroup_id_y 0
		.amdhsa_system_sgpr_workgroup_id_z 0
		.amdhsa_system_sgpr_workgroup_info 0
		.amdhsa_system_vgpr_workitem_id 0
		.amdhsa_next_free_vgpr 227
		.amdhsa_next_free_sgpr 26
		.amdhsa_reserve_vcc 1
		.amdhsa_float_round_mode_32 0
		.amdhsa_float_round_mode_16_64 0
		.amdhsa_float_denorm_mode_32 3
		.amdhsa_float_denorm_mode_16_64 3
		.amdhsa_fp16_overflow 0
		.amdhsa_workgroup_processor_mode 1
		.amdhsa_memory_ordered 1
		.amdhsa_forward_progress 0
		.amdhsa_round_robin_scheduling 0
		.amdhsa_exception_fp_ieee_invalid_op 0
		.amdhsa_exception_fp_denorm_src 0
		.amdhsa_exception_fp_ieee_div_zero 0
		.amdhsa_exception_fp_ieee_overflow 0
		.amdhsa_exception_fp_ieee_underflow 0
		.amdhsa_exception_fp_ieee_inexact 0
		.amdhsa_exception_int_div_zero 0
	.end_amdhsa_kernel
	.text
.Lfunc_end0:
	.size	bluestein_single_back_len2500_dim1_dp_op_CI_CI, .Lfunc_end0-bluestein_single_back_len2500_dim1_dp_op_CI_CI
                                        ; -- End function
	.section	.AMDGPU.csdata,"",@progbits
; Kernel info:
; codeLenInByte = 13464
; NumSgprs: 28
; NumVgprs: 227
; ScratchSize: 0
; MemoryBound: 0
; FloatMode: 240
; IeeeMode: 1
; LDSByteSize: 40000 bytes/workgroup (compile time only)
; SGPRBlocks: 3
; VGPRBlocks: 28
; NumSGPRsForWavesPerEU: 28
; NumVGPRsForWavesPerEU: 227
; Occupancy: 6
; WaveLimiterHint : 1
; COMPUTE_PGM_RSRC2:SCRATCH_EN: 0
; COMPUTE_PGM_RSRC2:USER_SGPR: 2
; COMPUTE_PGM_RSRC2:TRAP_HANDLER: 0
; COMPUTE_PGM_RSRC2:TGID_X_EN: 1
; COMPUTE_PGM_RSRC2:TGID_Y_EN: 0
; COMPUTE_PGM_RSRC2:TGID_Z_EN: 0
; COMPUTE_PGM_RSRC2:TIDIG_COMP_CNT: 0
	.text
	.p2alignl 7, 3214868480
	.fill 96, 4, 3214868480
	.type	__hip_cuid_8da952013a2eacf5,@object ; @__hip_cuid_8da952013a2eacf5
	.section	.bss,"aw",@nobits
	.globl	__hip_cuid_8da952013a2eacf5
__hip_cuid_8da952013a2eacf5:
	.byte	0                               ; 0x0
	.size	__hip_cuid_8da952013a2eacf5, 1

	.ident	"AMD clang version 19.0.0git (https://github.com/RadeonOpenCompute/llvm-project roc-6.4.0 25133 c7fe45cf4b819c5991fe208aaa96edf142730f1d)"
	.section	".note.GNU-stack","",@progbits
	.addrsig
	.addrsig_sym __hip_cuid_8da952013a2eacf5
	.amdgpu_metadata
---
amdhsa.kernels:
  - .args:
      - .actual_access:  read_only
        .address_space:  global
        .offset:         0
        .size:           8
        .value_kind:     global_buffer
      - .actual_access:  read_only
        .address_space:  global
        .offset:         8
        .size:           8
        .value_kind:     global_buffer
      - .actual_access:  read_only
        .address_space:  global
        .offset:         16
        .size:           8
        .value_kind:     global_buffer
      - .actual_access:  read_only
        .address_space:  global
        .offset:         24
        .size:           8
        .value_kind:     global_buffer
      - .actual_access:  read_only
        .address_space:  global
        .offset:         32
        .size:           8
        .value_kind:     global_buffer
      - .offset:         40
        .size:           8
        .value_kind:     by_value
      - .address_space:  global
        .offset:         48
        .size:           8
        .value_kind:     global_buffer
      - .address_space:  global
        .offset:         56
        .size:           8
        .value_kind:     global_buffer
      - .address_space:  global
        .offset:         64
        .size:           8
        .value_kind:     global_buffer
      - .address_space:  global
        .offset:         72
        .size:           8
        .value_kind:     global_buffer
      - .offset:         80
        .size:           4
        .value_kind:     by_value
      - .address_space:  global
        .offset:         88
        .size:           8
        .value_kind:     global_buffer
      - .address_space:  global
        .offset:         96
        .size:           8
        .value_kind:     global_buffer
    .group_segment_fixed_size: 40000
    .kernarg_segment_align: 8
    .kernarg_segment_size: 104
    .language:       OpenCL C
    .language_version:
      - 2
      - 0
    .max_flat_workgroup_size: 250
    .name:           bluestein_single_back_len2500_dim1_dp_op_CI_CI
    .private_segment_fixed_size: 0
    .sgpr_count:     28
    .sgpr_spill_count: 0
    .symbol:         bluestein_single_back_len2500_dim1_dp_op_CI_CI.kd
    .uniform_work_group_size: 1
    .uses_dynamic_stack: false
    .vgpr_count:     227
    .vgpr_spill_count: 0
    .wavefront_size: 32
    .workgroup_processor_mode: 1
amdhsa.target:   amdgcn-amd-amdhsa--gfx1201
amdhsa.version:
  - 1
  - 2
...

	.end_amdgpu_metadata
